;; amdgpu-corpus repo=ROCm/rocFFT kind=compiled arch=gfx950 opt=O3
	.text
	.amdgcn_target "amdgcn-amd-amdhsa--gfx950"
	.amdhsa_code_object_version 6
	.protected	fft_rtc_back_len4096_factors_16_16_16_wgs_256_tpt_256_halfLds_half_ip_CI_sbrr_dirReg ; -- Begin function fft_rtc_back_len4096_factors_16_16_16_wgs_256_tpt_256_halfLds_half_ip_CI_sbrr_dirReg
	.globl	fft_rtc_back_len4096_factors_16_16_16_wgs_256_tpt_256_halfLds_half_ip_CI_sbrr_dirReg
	.p2align	8
	.type	fft_rtc_back_len4096_factors_16_16_16_wgs_256_tpt_256_halfLds_half_ip_CI_sbrr_dirReg,@function
fft_rtc_back_len4096_factors_16_16_16_wgs_256_tpt_256_halfLds_half_ip_CI_sbrr_dirReg: ; @fft_rtc_back_len4096_factors_16_16_16_wgs_256_tpt_256_halfLds_half_ip_CI_sbrr_dirReg
; %bb.0:
	s_load_dwordx2 s[12:13], s[0:1], 0x18
	s_load_dwordx4 s[4:7], s[0:1], 0x0
	s_load_dwordx2 s[10:11], s[0:1], 0x50
	v_mov_b32_e32 v6, s2
	v_mov_b32_e32 v4, 0
	s_waitcnt lgkmcnt(0)
	s_load_dwordx2 s[8:9], s[12:13], 0x0
	v_cmp_lt_u64_e64 s[2:3], s[6:7], 2
	v_mov_b32_e32 v7, v4
	s_and_b64 vcc, exec, s[2:3]
	v_mov_b64_e32 v[2:3], 0
	s_cbranch_vccnz .LBB0_8
; %bb.1:
	s_load_dwordx2 s[2:3], s[0:1], 0x10
	s_add_u32 s14, s12, 8
	s_addc_u32 s15, s13, 0
	s_mov_b64 s[16:17], 1
	v_mov_b64_e32 v[2:3], 0
	s_waitcnt lgkmcnt(0)
	s_add_u32 s18, s2, 8
	s_addc_u32 s19, s3, 0
.LBB0_2:                                ; =>This Inner Loop Header: Depth=1
	s_load_dwordx2 s[20:21], s[18:19], 0x0
                                        ; implicit-def: $vgpr8_vgpr9
	s_waitcnt lgkmcnt(0)
	v_or_b32_e32 v5, s21, v7
	v_cmp_ne_u64_e32 vcc, 0, v[4:5]
	s_and_saveexec_b64 s[2:3], vcc
	s_xor_b64 s[22:23], exec, s[2:3]
	s_cbranch_execz .LBB0_4
; %bb.3:                                ;   in Loop: Header=BB0_2 Depth=1
	v_cvt_f32_u32_e32 v1, s20
	v_cvt_f32_u32_e32 v5, s21
	s_sub_u32 s2, 0, s20
	s_subb_u32 s3, 0, s21
	v_fmac_f32_e32 v1, 0x4f800000, v5
	v_rcp_f32_e32 v1, v1
	s_nop 0
	v_mul_f32_e32 v1, 0x5f7ffffc, v1
	v_mul_f32_e32 v5, 0x2f800000, v1
	v_trunc_f32_e32 v5, v5
	v_fmac_f32_e32 v1, 0xcf800000, v5
	v_cvt_u32_f32_e32 v5, v5
	v_cvt_u32_f32_e32 v1, v1
	v_mul_lo_u32 v8, s2, v5
	v_mul_hi_u32 v10, s2, v1
	v_mul_lo_u32 v9, s3, v1
	v_add_u32_e32 v10, v10, v8
	v_mul_lo_u32 v12, s2, v1
	v_add_u32_e32 v13, v10, v9
	v_mul_hi_u32 v8, v1, v12
	v_mul_hi_u32 v11, v1, v13
	v_mul_lo_u32 v10, v1, v13
	v_mov_b32_e32 v9, v4
	v_lshl_add_u64 v[8:9], v[8:9], 0, v[10:11]
	v_mul_hi_u32 v11, v5, v12
	v_mul_lo_u32 v12, v5, v12
	v_add_co_u32_e32 v8, vcc, v8, v12
	v_mul_hi_u32 v10, v5, v13
	s_nop 0
	v_addc_co_u32_e32 v8, vcc, v9, v11, vcc
	v_mov_b32_e32 v9, v4
	s_nop 0
	v_addc_co_u32_e32 v11, vcc, 0, v10, vcc
	v_mul_lo_u32 v10, v5, v13
	v_lshl_add_u64 v[8:9], v[8:9], 0, v[10:11]
	v_add_co_u32_e32 v1, vcc, v1, v8
	v_mul_lo_u32 v10, s2, v1
	s_nop 0
	v_addc_co_u32_e32 v5, vcc, v5, v9, vcc
	v_mul_lo_u32 v8, s2, v5
	v_mul_hi_u32 v9, s2, v1
	v_add_u32_e32 v8, v9, v8
	v_mul_lo_u32 v9, s3, v1
	v_add_u32_e32 v12, v8, v9
	v_mul_hi_u32 v14, v5, v10
	v_mul_lo_u32 v15, v5, v10
	v_mul_hi_u32 v9, v1, v12
	v_mul_lo_u32 v8, v1, v12
	v_mul_hi_u32 v10, v1, v10
	v_mov_b32_e32 v11, v4
	v_lshl_add_u64 v[8:9], v[10:11], 0, v[8:9]
	v_add_co_u32_e32 v8, vcc, v8, v15
	v_mul_hi_u32 v13, v5, v12
	s_nop 0
	v_addc_co_u32_e32 v8, vcc, v9, v14, vcc
	v_mul_lo_u32 v10, v5, v12
	s_nop 0
	v_addc_co_u32_e32 v11, vcc, 0, v13, vcc
	v_mov_b32_e32 v9, v4
	v_lshl_add_u64 v[8:9], v[8:9], 0, v[10:11]
	v_add_co_u32_e32 v1, vcc, v1, v8
	v_mul_hi_u32 v10, v6, v1
	s_nop 0
	v_addc_co_u32_e32 v5, vcc, v5, v9, vcc
	v_mad_u64_u32 v[8:9], s[2:3], v6, v5, 0
	v_mov_b32_e32 v11, v4
	v_lshl_add_u64 v[8:9], v[10:11], 0, v[8:9]
	v_mad_u64_u32 v[12:13], s[2:3], v7, v1, 0
	v_add_co_u32_e32 v1, vcc, v8, v12
	v_mad_u64_u32 v[10:11], s[2:3], v7, v5, 0
	s_nop 0
	v_addc_co_u32_e32 v8, vcc, v9, v13, vcc
	v_mov_b32_e32 v9, v4
	s_nop 0
	v_addc_co_u32_e32 v11, vcc, 0, v11, vcc
	v_lshl_add_u64 v[8:9], v[8:9], 0, v[10:11]
	v_mul_lo_u32 v1, s21, v8
	v_mul_lo_u32 v5, s20, v9
	v_mad_u64_u32 v[10:11], s[2:3], s20, v8, 0
	v_add3_u32 v1, v11, v5, v1
	v_sub_u32_e32 v5, v7, v1
	v_mov_b32_e32 v11, s21
	v_sub_co_u32_e32 v14, vcc, v6, v10
	v_lshl_add_u64 v[12:13], v[8:9], 0, 1
	s_nop 0
	v_subb_co_u32_e64 v5, s[2:3], v5, v11, vcc
	v_subrev_co_u32_e64 v10, s[2:3], s20, v14
	v_subb_co_u32_e32 v1, vcc, v7, v1, vcc
	s_nop 0
	v_subbrev_co_u32_e64 v5, s[2:3], 0, v5, s[2:3]
	v_cmp_le_u32_e64 s[2:3], s21, v5
	v_cmp_le_u32_e32 vcc, s21, v1
	s_nop 0
	v_cndmask_b32_e64 v11, 0, -1, s[2:3]
	v_cmp_le_u32_e64 s[2:3], s20, v10
	s_nop 1
	v_cndmask_b32_e64 v10, 0, -1, s[2:3]
	v_cmp_eq_u32_e64 s[2:3], s21, v5
	s_nop 1
	v_cndmask_b32_e64 v5, v11, v10, s[2:3]
	v_lshl_add_u64 v[10:11], v[8:9], 0, 2
	v_cmp_ne_u32_e64 s[2:3], 0, v5
	s_nop 1
	v_cndmask_b32_e64 v5, v13, v11, s[2:3]
	v_cndmask_b32_e64 v11, 0, -1, vcc
	v_cmp_le_u32_e32 vcc, s20, v14
	s_nop 1
	v_cndmask_b32_e64 v13, 0, -1, vcc
	v_cmp_eq_u32_e32 vcc, s21, v1
	s_nop 1
	v_cndmask_b32_e32 v1, v11, v13, vcc
	v_cmp_ne_u32_e32 vcc, 0, v1
	v_cndmask_b32_e64 v1, v12, v10, s[2:3]
	s_nop 0
	v_cndmask_b32_e32 v9, v9, v5, vcc
	v_cndmask_b32_e32 v8, v8, v1, vcc
.LBB0_4:                                ;   in Loop: Header=BB0_2 Depth=1
	s_andn2_saveexec_b64 s[2:3], s[22:23]
	s_cbranch_execz .LBB0_6
; %bb.5:                                ;   in Loop: Header=BB0_2 Depth=1
	v_cvt_f32_u32_e32 v1, s20
	s_sub_i32 s22, 0, s20
	v_rcp_iflag_f32_e32 v1, v1
	s_nop 0
	v_mul_f32_e32 v1, 0x4f7ffffe, v1
	v_cvt_u32_f32_e32 v1, v1
	v_mul_lo_u32 v5, s22, v1
	v_mul_hi_u32 v5, v1, v5
	v_add_u32_e32 v1, v1, v5
	v_mul_hi_u32 v1, v6, v1
	v_mul_lo_u32 v5, v1, s20
	v_sub_u32_e32 v5, v6, v5
	v_add_u32_e32 v8, 1, v1
	v_subrev_u32_e32 v9, s20, v5
	v_cmp_le_u32_e32 vcc, s20, v5
	s_nop 1
	v_cndmask_b32_e32 v5, v5, v9, vcc
	v_cndmask_b32_e32 v1, v1, v8, vcc
	v_add_u32_e32 v8, 1, v1
	v_cmp_le_u32_e32 vcc, s20, v5
	v_mov_b32_e32 v9, v4
	s_nop 0
	v_cndmask_b32_e32 v8, v1, v8, vcc
.LBB0_6:                                ;   in Loop: Header=BB0_2 Depth=1
	s_or_b64 exec, exec, s[2:3]
	v_mad_u64_u32 v[10:11], s[2:3], v8, s20, 0
	s_load_dwordx2 s[2:3], s[14:15], 0x0
	v_mul_lo_u32 v1, v9, s20
	v_mul_lo_u32 v5, v8, s21
	v_add3_u32 v1, v11, v5, v1
	v_sub_co_u32_e32 v5, vcc, v6, v10
	s_add_u32 s16, s16, 1
	s_nop 0
	v_subb_co_u32_e32 v1, vcc, v7, v1, vcc
	s_addc_u32 s17, s17, 0
	s_waitcnt lgkmcnt(0)
	v_mul_lo_u32 v1, s2, v1
	v_mul_lo_u32 v6, s3, v5
	v_mad_u64_u32 v[2:3], s[2:3], s2, v5, v[2:3]
	s_add_u32 s14, s14, 8
	v_add3_u32 v3, v6, v3, v1
	s_addc_u32 s15, s15, 0
	v_mov_b64_e32 v[6:7], s[6:7]
	s_add_u32 s18, s18, 8
	v_cmp_ge_u64_e32 vcc, s[16:17], v[6:7]
	s_addc_u32 s19, s19, 0
	s_cbranch_vccnz .LBB0_9
; %bb.7:                                ;   in Loop: Header=BB0_2 Depth=1
	v_mov_b64_e32 v[6:7], v[8:9]
	s_branch .LBB0_2
.LBB0_8:
	v_mov_b64_e32 v[8:9], v[6:7]
.LBB0_9:
	s_lshl_b64 s[2:3], s[6:7], 3
	s_add_u32 s2, s12, s2
	s_addc_u32 s3, s13, s3
	s_load_dwordx2 s[6:7], s[2:3], 0x0
	s_load_dwordx2 s[12:13], s[0:1], 0x20
	v_mov_b32_e32 v22, 0
	v_mov_b32_e32 v23, 0
	;; [unrolled: 1-line block ×3, first 2 shown]
	s_waitcnt lgkmcnt(0)
	v_mul_lo_u32 v1, s6, v9
	v_mul_lo_u32 v4, s7, v8
	v_mad_u64_u32 v[2:3], s[0:1], s6, v8, v[2:3]
	v_add3_u32 v3, v4, v3, v1
	v_cmp_gt_u64_e32 vcc, s[12:13], v[8:9]
	v_mov_b32_e32 v1, 0
	v_lshl_add_u64 v[2:3], v[2:3], 2, s[10:11]
	v_mov_b32_e32 v19, 0
	v_mov_b32_e32 v13, 0
	;; [unrolled: 1-line block ×5, first 2 shown]
                                        ; implicit-def: $vgpr25
                                        ; implicit-def: $vgpr9
                                        ; implicit-def: $vgpr16
                                        ; implicit-def: $vgpr5
                                        ; implicit-def: $vgpr24
                                        ; implicit-def: $vgpr8
                                        ; implicit-def: $vgpr15
                                        ; implicit-def: $vgpr4
                                        ; implicit-def: $vgpr27
                                        ; implicit-def: $vgpr12
                                        ; implicit-def: $vgpr21
                                        ; implicit-def: $vgpr7
                                        ; implicit-def: $vgpr26
                                        ; implicit-def: $vgpr11
                                        ; implicit-def: $vgpr17
                                        ; implicit-def: $vgpr6
	s_and_saveexec_b64 s[0:1], vcc
	s_cbranch_execz .LBB0_11
; %bb.10:
	v_mad_u64_u32 v[4:5], s[2:3], s8, v0, 0
	v_mov_b32_e32 v6, v5
	v_mad_u64_u32 v[6:7], s[2:3], s9, v0, v[6:7]
	v_mov_b32_e32 v5, v6
	v_or_b32_e32 v1, 0x100, v0
	v_lshl_add_u64 v[16:17], v[4:5], 2, v[2:3]
	v_mad_u64_u32 v[4:5], s[2:3], s8, v1, 0
	v_mov_b32_e32 v6, v5
	v_mad_u64_u32 v[6:7], s[2:3], s9, v1, v[6:7]
	v_mov_b32_e32 v5, v6
	v_or_b32_e32 v1, 0x200, v0
	v_lshl_add_u64 v[20:21], v[4:5], 2, v[2:3]
	;; [unrolled: 6-line block ×15, first 2 shown]
	v_mad_u64_u32 v[4:5], s[2:3], s8, v1, 0
	v_mov_b32_e32 v6, v5
	v_mad_u64_u32 v[6:7], s[2:3], s9, v1, v[6:7]
	v_mov_b32_e32 v5, v6
	v_lshl_add_u64 v[50:51], v[4:5], 2, v[2:3]
	global_load_dword v9, v[36:37], off
	global_load_dword v5, v[38:39], off
	;; [unrolled: 1-line block ×15, first 2 shown]
                                        ; kill: killed $vgpr16_vgpr17
                                        ; kill: killed $vgpr48_vgpr49
                                        ; kill: killed $vgpr36_vgpr37
                                        ; kill: killed $vgpr38_vgpr39
                                        ; kill: killed $vgpr42_vgpr43
                                        ; kill: killed $vgpr26_vgpr27
                                        ; kill: killed $vgpr46_vgpr47
                                        ; kill: killed $vgpr32_vgpr33
                                        ; kill: killed $vgpr24_vgpr25
                                        ; kill: killed $vgpr50_vgpr51
                                        ; kill: killed $vgpr40_vgpr41
                                        ; kill: killed $vgpr30_vgpr31
                                        ; kill: killed $vgpr20_vgpr21
                                        ; kill: killed $vgpr44_vgpr45
                                        ; kill: killed $vgpr28_vgpr29
	global_load_dword v20, v[34:35], off
	v_mov_b32_e32 v1, v0
	s_waitcnt vmcnt(15)
	v_lshrrev_b32_e32 v25, 16, v9
	s_waitcnt vmcnt(14)
	v_lshrrev_b32_e32 v16, 16, v5
	;; [unrolled: 2-line block ×8, first 2 shown]
.LBB0_11:
	s_or_b64 exec, exec, s[0:1]
	s_waitcnt vmcnt(3)
	v_lshrrev_b32_e32 v29, 16, v23
	s_waitcnt vmcnt(1)
	v_lshrrev_b32_e32 v31, 16, v19
	v_lshrrev_b32_e32 v28, 16, v22
	v_sub_f16_e32 v9, v22, v9
	v_sub_f16_e32 v27, v29, v27
	v_lshrrev_b32_e32 v30, 16, v18
	v_sub_f16_e32 v8, v18, v8
	v_sub_f16_e32 v26, v31, v26
	;; [unrolled: 1-line block ×4, first 2 shown]
	v_fma_f16 v29, v29, 2.0, -v27
	v_sub_f16_e32 v24, v30, v24
	v_sub_f16_e32 v11, v19, v11
	v_fma_f16 v31, v31, 2.0, -v26
	v_lshrrev_b32_e32 v33, 16, v14
	s_waitcnt vmcnt(0)
	v_lshrrev_b32_e32 v35, 16, v20
	v_add_f16_e32 v27, v9, v27
	v_add_f16_e32 v26, v8, v26
	v_fma_f16 v22, v22, 2.0, -v9
	v_fma_f16 v23, v23, 2.0, -v12
	;; [unrolled: 1-line block ×4, first 2 shown]
	v_lshrrev_b32_e32 v32, 16, v13
	v_sub_f16_e32 v5, v13, v5
	v_sub_f16_e32 v21, v33, v21
	v_lshrrev_b32_e32 v34, 16, v10
	v_sub_f16_e32 v4, v10, v4
	v_sub_f16_e32 v17, v35, v17
	v_sub_f16_e32 v12, v25, v12
	v_fma_f16 v9, v9, 2.0, -v27
	v_sub_f16_e32 v11, v24, v11
	v_fma_f16 v8, v8, 2.0, -v26
	s_mov_b32 s0, 0xb9a8
	v_fma_f16 v28, v28, 2.0, -v25
	v_fma_f16 v30, v30, 2.0, -v24
	v_sub_f16_e32 v16, v32, v16
	v_sub_f16_e32 v7, v14, v7
	v_fma_f16 v33, v33, 2.0, -v21
	v_sub_f16_e32 v15, v34, v15
	v_sub_f16_e32 v6, v20, v6
	v_fma_f16 v35, v35, 2.0, -v17
	v_fma_f16 v25, v25, 2.0, -v12
	;; [unrolled: 1-line block ×3, first 2 shown]
	v_add_f16_e32 v21, v5, v21
	v_add_f16_e32 v17, v4, v17
	v_fma_f16 v36, v8, s0, v9
	s_movk_i32 s1, 0x39a8
	v_fma_f16 v13, v13, 2.0, -v5
	v_fma_f16 v14, v14, 2.0, -v7
	;; [unrolled: 1-line block ×4, first 2 shown]
	v_sub_f16_e32 v7, v16, v7
	v_fma_f16 v5, v5, 2.0, -v21
	v_sub_f16_e32 v6, v15, v6
	v_fma_f16 v4, v4, 2.0, -v17
	v_fma_f16 v37, v24, s0, v25
	v_fma_f16 v24, v24, s1, v36
	;; [unrolled: 1-line block ×3, first 2 shown]
	v_fma_f16 v32, v32, 2.0, -v16
	v_fma_f16 v34, v34, 2.0, -v15
	;; [unrolled: 1-line block ×4, first 2 shown]
	v_fma_f16 v8, v8, s0, v37
	v_fma_f16 v37, v11, s1, v12
	;; [unrolled: 1-line block ×4, first 2 shown]
	v_sub_f16_e32 v23, v22, v23
	v_sub_f16_e32 v31, v30, v31
	;; [unrolled: 1-line block ×4, first 2 shown]
	v_fma_f16 v26, v26, s0, v37
	v_fma_f16 v37, v15, s0, v16
	;; [unrolled: 1-line block ×3, first 2 shown]
	v_sub_f16_e32 v29, v28, v29
	v_sub_f16_e32 v19, v18, v19
	v_fma_f16 v30, v30, 2.0, -v31
	v_sub_f16_e32 v33, v32, v33
	v_sub_f16_e32 v20, v10, v20
	v_fma_f16 v34, v34, 2.0, -v35
	v_fma_f16 v9, v9, 2.0, -v24
	v_add_f16_e32 v31, v23, v31
	v_fma_f16 v4, v4, s0, v37
	v_fma_f16 v5, v5, 2.0, -v15
	v_add_f16_e32 v35, v14, v35
	v_fma_f16 v36, v17, s1, v21
	s_mov_b32 s2, 0xbb64
	v_fma_f16 v22, v22, 2.0, -v23
	v_fma_f16 v18, v18, 2.0, -v19
	;; [unrolled: 1-line block ×5, first 2 shown]
	v_sub_f16_e32 v19, v29, v19
	v_fma_f16 v23, v23, 2.0, -v31
	v_fma_f16 v16, v16, 2.0, -v4
	v_sub_f16_e32 v20, v33, v20
	v_fma_f16 v14, v14, 2.0, -v35
	v_fma_f16 v37, v6, s1, v7
	v_fma_f16 v6, v6, s1, v36
	;; [unrolled: 1-line block ×3, first 2 shown]
	s_movk_i32 s6, 0x361f
	v_fma_f16 v28, v28, 2.0, -v29
	v_fma_f16 v32, v32, 2.0, -v33
	;; [unrolled: 1-line block ×5, first 2 shown]
	v_fma_f16 v17, v17, s0, v37
	v_fma_f16 v21, v21, 2.0, -v6
	v_fma_f16 v37, v16, s2, v25
	v_fma_f16 v16, v16, s6, v36
	s_mov_b32 s3, 0xb61f
	v_fma_f16 v36, v14, s0, v23
	v_fma_f16 v12, v12, 2.0, -v26
	v_fma_f16 v7, v7, 2.0, -v17
	v_fma_f16 v5, v5, s3, v37
	v_fma_f16 v37, v33, s0, v29
	;; [unrolled: 1-line block ×4, first 2 shown]
	s_movk_i32 s7, 0x3b64
	v_sub_f16_e32 v18, v22, v18
	v_sub_f16_e32 v10, v13, v10
	v_fma_f16 v14, v14, s0, v37
	v_fma_f16 v37, v7, s3, v12
	;; [unrolled: 1-line block ×4, first 2 shown]
	v_fma_f16 v22, v22, 2.0, -v18
	v_fma_f16 v13, v13, 2.0, -v10
	v_fma_f16 v21, v21, s2, v37
	v_fma_f16 v37, v4, s6, v8
	;; [unrolled: 1-line block ×4, first 2 shown]
	v_sub_f16_e32 v34, v32, v34
	v_sub_f16_e32 v13, v22, v13
	v_fma_f16 v15, v15, s2, v37
	v_fma_f16 v37, v20, s1, v19
	v_fma_f16 v20, v20, s1, v4
	v_fma_f16 v4, v6, s7, v11
	v_fma_f16 v32, v32, 2.0, -v34
	v_fma_f16 v22, v22, 2.0, -v13
	;; [unrolled: 1-line block ×5, first 2 shown]
	v_add_f16_e32 v34, v18, v34
	v_fma_f16 v35, v35, s0, v37
	v_fma_f16 v37, v17, s7, v26
	;; [unrolled: 1-line block ×3, first 2 shown]
	v_sub_f16_e32 v30, v28, v30
	v_fma_f16 v18, v18, 2.0, -v34
	v_fma_f16 v24, v24, 2.0, -v36
	;; [unrolled: 1-line block ×4, first 2 shown]
	v_lshl_add_u32 v4, v0, 5, 0
	v_pack_b32_f16 v23, v23, v27
	v_pack_b32_f16 v9, v22, v9
	v_fma_f16 v28, v28, 2.0, -v30
	ds_write2_b32 v4, v9, v23 offset1:1
	v_pack_b32_f16 v9, v31, v11
	v_pack_b32_f16 v11, v18, v24
	v_sub_f16_e32 v32, v28, v32
	ds_write2_b32 v4, v11, v9 offset0:2 offset1:3
	v_pack_b32_f16 v7, v33, v7
	v_pack_b32_f16 v9, v13, v16
	v_fma_f16 v28, v28, 2.0, -v32
	v_fma_f16 v25, v25, 2.0, -v5
	;; [unrolled: 1-line block ×4, first 2 shown]
	v_sub_f16_e32 v10, v30, v10
	v_fma_f16 v6, v6, s3, v37
	ds_write2_b32 v4, v9, v7 offset0:4 offset1:5
	v_pack_b32_f16 v7, v20, v17
	v_pack_b32_f16 v9, v34, v36
	s_movk_i32 s10, 0xffe2
	v_fma_f16 v30, v30, 2.0, -v10
	v_fma_f16 v8, v8, 2.0, -v15
	;; [unrolled: 1-line block ×4, first 2 shown]
	ds_write2_b32 v4, v9, v7 offset0:6 offset1:7
	v_mad_i32_i24 v22, v0, s10, v4
	v_pack_b32_f16 v7, v29, v12
	v_pack_b32_f16 v9, v28, v25
	s_waitcnt lgkmcnt(0)
	s_barrier
	ds_read_u16 v23, v22
	ds_read_u16 v24, v22 offset:512
	ds_read_u16 v27, v22 offset:1024
	;; [unrolled: 1-line block ×15, first 2 shown]
	s_waitcnt lgkmcnt(0)
	s_barrier
	ds_write2_b32 v4, v9, v7 offset1:1
	v_pack_b32_f16 v7, v19, v26
	v_pack_b32_f16 v8, v30, v8
	ds_write2_b32 v4, v8, v7 offset0:2 offset1:3
	v_pack_b32_f16 v7, v14, v21
	v_pack_b32_f16 v5, v32, v5
	ds_write2_b32 v4, v5, v7 offset0:4 offset1:5
	v_pack_b32_f16 v5, v35, v6
	v_pack_b32_f16 v6, v10, v15
	ds_write2_b32 v4, v6, v5 offset0:6 offset1:7
	v_and_b32_e32 v5, 15, v0
	v_mul_u32_u24_e32 v5, 15, v5
	v_lshlrev_b32_e32 v5, 2, v5
	s_waitcnt lgkmcnt(0)
	s_barrier
	global_load_dwordx4 v[6:9], v5, s[4:5]
	global_load_dwordx4 v[10:13], v5, s[4:5] offset:16
	global_load_dwordx4 v[14:17], v5, s[4:5] offset:32
	global_load_dwordx3 v[18:20], v5, s[4:5] offset:48
	ds_read_u16 v21, v22
	ds_read_u16 v25, v22 offset:512
	ds_read_u16 v26, v22 offset:1024
	;; [unrolled: 1-line block ×15, first 2 shown]
	v_lshlrev_b32_e32 v5, 4, v0
	s_movk_i32 s10, 0xf0f
	v_bitop3_b32 v5, v5, s10, v0 bitop3:0xc8
	s_waitcnt lgkmcnt(0)
	s_barrier
	s_waitcnt vmcnt(3)
	v_mul_f16_sdwa v54, v25, v6 dst_sel:DWORD dst_unused:UNUSED_PAD src0_sel:DWORD src1_sel:WORD_1
	v_fma_f16 v54, v24, v6, v54
	v_mul_f16_sdwa v24, v24, v6 dst_sel:DWORD dst_unused:UNUSED_PAD src0_sel:DWORD src1_sel:WORD_1
	v_fma_f16 v6, v25, v6, -v24
	v_mul_f16_sdwa v24, v26, v7 dst_sel:DWORD dst_unused:UNUSED_PAD src0_sel:DWORD src1_sel:WORD_1
	v_mul_f16_sdwa v25, v27, v7 dst_sel:DWORD dst_unused:UNUSED_PAD src0_sel:DWORD src1_sel:WORD_1
	v_fma_f16 v24, v27, v7, v24
	v_fma_f16 v7, v26, v7, -v25
	v_mul_f16_sdwa v25, v28, v8 dst_sel:DWORD dst_unused:UNUSED_PAD src0_sel:DWORD src1_sel:WORD_1
	v_mul_f16_sdwa v26, v31, v8 dst_sel:DWORD dst_unused:UNUSED_PAD src0_sel:DWORD src1_sel:WORD_1
	v_fma_f16 v25, v31, v8, v25
	v_fma_f16 v8, v28, v8, -v26
	v_mul_f16_sdwa v26, v29, v9 dst_sel:DWORD dst_unused:UNUSED_PAD src0_sel:DWORD src1_sel:WORD_1
	v_mul_f16_sdwa v27, v33, v9 dst_sel:DWORD dst_unused:UNUSED_PAD src0_sel:DWORD src1_sel:WORD_1
	v_fma_f16 v26, v33, v9, v26
	v_fma_f16 v9, v29, v9, -v27
	s_waitcnt vmcnt(2)
	v_mul_f16_sdwa v27, v30, v10 dst_sel:DWORD dst_unused:UNUSED_PAD src0_sel:DWORD src1_sel:WORD_1
	v_mul_f16_sdwa v28, v34, v10 dst_sel:DWORD dst_unused:UNUSED_PAD src0_sel:DWORD src1_sel:WORD_1
	v_fma_f16 v27, v34, v10, v27
	v_fma_f16 v10, v30, v10, -v28
	v_mul_f16_sdwa v28, v32, v11 dst_sel:DWORD dst_unused:UNUSED_PAD src0_sel:DWORD src1_sel:WORD_1
	v_mul_f16_sdwa v29, v36, v11 dst_sel:DWORD dst_unused:UNUSED_PAD src0_sel:DWORD src1_sel:WORD_1
	v_fma_f16 v28, v36, v11, v28
	v_fma_f16 v11, v32, v11, -v29
	v_mul_f16_sdwa v29, v35, v12 dst_sel:DWORD dst_unused:UNUSED_PAD src0_sel:DWORD src1_sel:WORD_1
	v_mul_f16_sdwa v30, v37, v12 dst_sel:DWORD dst_unused:UNUSED_PAD src0_sel:DWORD src1_sel:WORD_1
	v_fma_f16 v29, v37, v12, v29
	v_fma_f16 v12, v35, v12, -v30
	v_mul_f16_sdwa v30, v46, v13 dst_sel:DWORD dst_unused:UNUSED_PAD src0_sel:DWORD src1_sel:WORD_1
	v_mul_f16_sdwa v31, v38, v13 dst_sel:DWORD dst_unused:UNUSED_PAD src0_sel:DWORD src1_sel:WORD_1
	v_fma_f16 v30, v38, v13, v30
	v_fma_f16 v13, v46, v13, -v31
	s_waitcnt vmcnt(1)
	v_mul_f16_sdwa v31, v47, v14 dst_sel:DWORD dst_unused:UNUSED_PAD src0_sel:DWORD src1_sel:WORD_1
	v_mul_f16_sdwa v32, v39, v14 dst_sel:DWORD dst_unused:UNUSED_PAD src0_sel:DWORD src1_sel:WORD_1
	v_fma_f16 v31, v39, v14, v31
	;; [unrolled: 17-line block ×3, first 2 shown]
	v_fma_f16 v18, v51, v18, -v36
	v_mul_f16_sdwa v36, v52, v19 dst_sel:DWORD dst_unused:UNUSED_PAD src0_sel:DWORD src1_sel:WORD_1
	v_mul_f16_sdwa v37, v44, v19 dst_sel:DWORD dst_unused:UNUSED_PAD src0_sel:DWORD src1_sel:WORD_1
	v_fma_f16 v36, v44, v19, v36
	v_fma_f16 v19, v52, v19, -v37
	v_mul_f16_sdwa v37, v53, v20 dst_sel:DWORD dst_unused:UNUSED_PAD src0_sel:DWORD src1_sel:WORD_1
	v_fma_f16 v37, v45, v20, v37
	v_mul_f16_sdwa v38, v45, v20 dst_sel:DWORD dst_unused:UNUSED_PAD src0_sel:DWORD src1_sel:WORD_1
	v_sub_f16_e32 v30, v23, v30
	v_sub_f16_e32 v13, v21, v13
	;; [unrolled: 1-line block ×8, first 2 shown]
	v_fma_f16 v20, v53, v20, -v38
	v_fma_f16 v26, v26, 2.0, -v34
	v_fma_f16 v9, v9, 2.0, -v17
	;; [unrolled: 1-line block ×4, first 2 shown]
	v_sub_f16_e32 v31, v54, v31
	v_sub_f16_e32 v35, v27, v35
	;; [unrolled: 1-line block ×4, first 2 shown]
	v_add_f16_e32 v17, v30, v17
	v_sub_f16_e32 v34, v13, v34
	v_add_f16_e32 v19, v32, v19
	v_sub_f16_e32 v36, v15, v36
	v_fma_f16 v23, v23, 2.0, -v30
	v_fma_f16 v21, v21, 2.0, -v13
	;; [unrolled: 1-line block ×4, first 2 shown]
	v_sub_f16_e32 v14, v6, v14
	v_fma_f16 v38, v54, 2.0, -v31
	v_sub_f16_e32 v18, v10, v18
	v_fma_f16 v27, v27, 2.0, -v35
	;; [unrolled: 2-line block ×4, first 2 shown]
	v_fma_f16 v30, v30, 2.0, -v17
	v_fma_f16 v13, v13, 2.0, -v34
	;; [unrolled: 1-line block ×8, first 2 shown]
	v_sub_f16_e32 v26, v23, v26
	v_sub_f16_e32 v28, v24, v28
	;; [unrolled: 1-line block ×3, first 2 shown]
	v_add_f16_e32 v18, v31, v18
	v_sub_f16_e32 v35, v14, v35
	v_sub_f16_e32 v29, v25, v29
	v_add_f16_e32 v20, v33, v20
	v_sub_f16_e32 v37, v16, v37
	v_fma_f16 v39, v32, s0, v30
	v_fma_f16 v40, v15, s0, v13
	v_sub_f16_e32 v9, v21, v9
	v_fma_f16 v23, v23, 2.0, -v26
	v_sub_f16_e32 v11, v7, v11
	v_fma_f16 v24, v24, 2.0, -v28
	;; [unrolled: 2-line block ×3, first 2 shown]
	v_fma_f16 v31, v31, 2.0, -v18
	v_fma_f16 v14, v14, 2.0, -v35
	v_sub_f16_e32 v12, v8, v12
	v_fma_f16 v25, v25, 2.0, -v29
	v_fma_f16 v33, v33, 2.0, -v20
	;; [unrolled: 1-line block ×3, first 2 shown]
	v_fma_f16 v15, v15, s1, v39
	v_fma_f16 v32, v32, s0, v40
	;; [unrolled: 1-line block ×4, first 2 shown]
	v_fma_f16 v21, v21, 2.0, -v9
	v_fma_f16 v7, v7, 2.0, -v11
	;; [unrolled: 1-line block ×4, first 2 shown]
	v_sub_f16_e32 v24, v23, v24
	v_fma_f16 v36, v36, s1, v39
	v_fma_f16 v19, v19, s0, v40
	v_sub_f16_e32 v25, v38, v25
	v_fma_f16 v39, v33, s0, v31
	v_fma_f16 v40, v16, s0, v14
	v_sub_f16_e32 v7, v21, v7
	v_fma_f16 v23, v23, 2.0, -v24
	v_sub_f16_e32 v8, v6, v8
	v_fma_f16 v38, v38, 2.0, -v25
	v_fma_f16 v16, v16, s1, v39
	v_fma_f16 v33, v33, s0, v40
	v_fma_f16 v21, v21, 2.0, -v7
	v_fma_f16 v30, v30, 2.0, -v15
	;; [unrolled: 1-line block ×6, first 2 shown]
	v_fma_f16 v39, v20, s1, v18
	v_fma_f16 v40, v37, s1, v35
	v_sub_f16_e32 v38, v23, v38
	v_add_f16_e32 v11, v26, v11
	v_sub_f16_e32 v28, v9, v28
	v_add_f16_e32 v12, v27, v12
	v_sub_f16_e32 v29, v10, v29
	v_fma_f16 v37, v37, s1, v39
	v_fma_f16 v20, v20, s0, v40
	v_sub_f16_e32 v39, v21, v6
	v_fma_f16 v6, v23, 2.0, -v38
	v_fma_f16 v23, v31, s2, v30
	v_fma_f16 v40, v14, s2, v13
	v_fma_f16 v26, v26, 2.0, -v11
	v_fma_f16 v9, v9, 2.0, -v28
	;; [unrolled: 1-line block ×4, first 2 shown]
	v_fma_f16 v14, v14, s6, v23
	v_fma_f16 v23, v31, s3, v40
	v_fma_f16 v31, v13, 2.0, -v23
	v_fma_f16 v13, v27, s0, v26
	v_fma_f16 v40, v10, s0, v9
	v_fma_f16 v17, v17, 2.0, -v36
	v_fma_f16 v34, v34, 2.0, -v19
	;; [unrolled: 1-line block ×4, first 2 shown]
	v_fma_f16 v10, v10, s1, v13
	v_fma_f16 v27, v27, s0, v40
	v_fma_f16 v13, v26, 2.0, -v10
	v_fma_f16 v26, v9, 2.0, -v27
	v_fma_f16 v9, v18, s3, v17
	v_fma_f16 v40, v35, s3, v34
	v_add_f16_e32 v8, v24, v8
	v_sub_f16_e32 v25, v7, v25
	v_fma_f16 v9, v35, s7, v9
	v_fma_f16 v35, v18, s2, v40
	v_fma_f16 v18, v24, 2.0, -v8
	v_fma_f16 v24, v7, 2.0, -v25
	v_fma_f16 v7, v16, s6, v15
	v_fma_f16 v40, v33, s6, v32
	;; [unrolled: 1-line block ×11, first 2 shown]
	v_fma_f16 v17, v17, 2.0, -v9
	v_fma_f16 v15, v15, 2.0, -v7
	;; [unrolled: 1-line block ×3, first 2 shown]
	v_fma_f16 v37, v37, s3, v40
	v_fma_f16 v20, v36, 2.0, -v12
	v_lshl_add_u32 v40, v5, 1, 0
	v_fma_f16 v30, v30, 2.0, -v14
	v_fma_f16 v36, v19, 2.0, -v37
	ds_write_b16 v40, v6
	ds_write_b16 v40, v30 offset:32
	ds_write_b16 v40, v13 offset:64
	;; [unrolled: 1-line block ×15, first 2 shown]
	s_waitcnt lgkmcnt(0)
	s_barrier
	ds_read_u16 v5, v22
	ds_read_u16 v9, v22 offset:512
	ds_read_u16 v15, v22 offset:1024
	;; [unrolled: 1-line block ×15, first 2 shown]
	v_fma_f16 v21, v21, 2.0, -v39
	v_fma_f16 v34, v34, 2.0, -v35
	;; [unrolled: 1-line block ×4, first 2 shown]
	s_waitcnt lgkmcnt(0)
	s_barrier
	ds_write_b16 v40, v21
	ds_write_b16 v40, v31 offset:32
	ds_write_b16 v40, v26 offset:64
	;; [unrolled: 1-line block ×15, first 2 shown]
	s_waitcnt lgkmcnt(0)
	s_barrier
	s_and_saveexec_b64 s[10:11], vcc
	s_cbranch_execz .LBB0_13
; %bb.12:
	v_mul_u32_u24_e32 v21, 15, v0
	v_lshlrev_b32_e32 v21, 2, v21
	global_load_dwordx4 v[22:25], v21, s[4:5] offset:960
	global_load_dwordx4 v[26:29], v21, s[4:5] offset:992
	;; [unrolled: 1-line block ×3, first 2 shown]
	global_load_dwordx3 v[34:36], v21, s[4:5] offset:1008
	v_mul_i32_i24_e32 v0, 0xffffffe2, v0
	v_add_u32_e32 v0, v4, v0
	ds_read_u16 v4, v0 offset:4096
	ds_read_u16 v21, v0 offset:3584
	;; [unrolled: 1-line block ×15, first 2 shown]
	ds_read_u16 v0, v0
	s_waitcnt vmcnt(3)
	v_mul_f16_sdwa v50, v15, v23 dst_sel:DWORD dst_unused:UNUSED_PAD src0_sel:DWORD src1_sel:WORD_1
	s_waitcnt vmcnt(2)
	v_mul_f16_sdwa v51, v18, v27 dst_sel:DWORD dst_unused:UNUSED_PAD src0_sel:DWORD src1_sel:WORD_1
	s_waitcnt vmcnt(1)
	v_lshrrev_b32_e32 v53, 16, v31
	v_mul_f16_e32 v56, v19, v31
	v_mul_f16_e32 v19, v19, v53
	s_waitcnt lgkmcnt(13)
	v_fma_f16 v19, v37, v31, -v19
	v_mul_f16_sdwa v31, v12, v28 dst_sel:DWORD dst_unused:UNUSED_PAD src0_sel:DWORD src1_sel:WORD_1
	v_lshrrev_b32_e32 v52, 16, v30
	v_lshrrev_b32_e32 v54, 16, v32
	s_waitcnt vmcnt(0)
	v_lshrrev_b32_e32 v58, 16, v35
	v_fma_f16 v56, v37, v53, v56
	v_mul_f16_e32 v53, v20, v35
	s_waitcnt lgkmcnt(2)
	v_fma_f16 v50, v48, v23, -v50
	v_mul_f16_sdwa v48, v48, v23 dst_sel:DWORD dst_unused:UNUSED_PAD src0_sel:DWORD src1_sel:WORD_1
	v_fma_f16 v51, v46, v27, -v51
	v_mul_f16_sdwa v46, v46, v27 dst_sel:DWORD dst_unused:UNUSED_PAD src0_sel:DWORD src1_sel:WORD_1
	;; [unrolled: 2-line block ×3, first 2 shown]
	v_fma_f16 v53, v42, v58, v53
	v_mul_f16_e32 v20, v20, v58
	v_mul_f16_sdwa v58, v6, v25 dst_sel:DWORD dst_unused:UNUSED_PAD src0_sel:DWORD src1_sel:WORD_1
	v_fma_f16 v15, v15, v23, v48
	v_fma_f16 v18, v18, v27, v46
	v_mul_f16_e32 v27, v16, v32
	v_mul_f16_e32 v16, v16, v54
	v_mul_f16_sdwa v48, v13, v24 dst_sel:DWORD dst_unused:UNUSED_PAD src0_sel:DWORD src1_sel:WORD_1
	v_fma_f16 v12, v12, v28, v45
	v_mul_f16_e32 v28, v11, v30
	v_mul_f16_e32 v11, v11, v52
	v_lshrrev_b32_e32 v57, 16, v34
	v_lshrrev_b32_e32 v59, 16, v36
	v_fma_f16 v48, v40, v24, -v48
	v_mul_f16_sdwa v40, v40, v24 dst_sel:DWORD dst_unused:UNUSED_PAD src0_sel:DWORD src1_sel:WORD_1
	v_fma_f16 v16, v21, v32, -v16
	v_fma_f16 v32, v39, v25, -v58
	v_fma_f16 v28, v38, v52, v28
	v_fma_f16 v11, v38, v30, -v11
	s_waitcnt lgkmcnt(1)
	v_mul_f16_sdwa v38, v49, v22 dst_sel:DWORD dst_unused:UNUSED_PAD src0_sel:DWORD src1_sel:WORD_1
	v_mul_f16_sdwa v39, v39, v25 dst_sel:DWORD dst_unused:UNUSED_PAD src0_sel:DWORD src1_sel:WORD_1
	v_lshrrev_b32_e32 v55, 16, v33
	v_mul_f16_e32 v46, v17, v36
	v_mul_f16_e32 v17, v17, v59
	v_fma_f16 v13, v13, v24, v40
	v_mul_f16_e32 v24, v14, v34
	v_mul_f16_e32 v14, v14, v57
	;; [unrolled: 1-line block ×3, first 2 shown]
	v_fma_f16 v20, v42, v35, -v20
	v_mul_f16_sdwa v35, v9, v22 dst_sel:DWORD dst_unused:UNUSED_PAD src0_sel:DWORD src1_sel:WORD_1
	v_fma_f16 v9, v9, v22, v38
	v_mul_f16_sdwa v38, v47, v26 dst_sel:DWORD dst_unused:UNUSED_PAD src0_sel:DWORD src1_sel:WORD_1
	v_fma_f16 v6, v6, v25, v39
	v_mul_f16_sdwa v25, v44, v29 dst_sel:DWORD dst_unused:UNUSED_PAD src0_sel:DWORD src1_sel:WORD_1
	v_mul_f16_sdwa v23, v7, v29 dst_sel:DWORD dst_unused:UNUSED_PAD src0_sel:DWORD src1_sel:WORD_1
	v_fma_f16 v27, v21, v54, v27
	v_fma_f16 v46, v41, v59, v46
	v_fma_f16 v24, v43, v57, v24
	v_mul_f16_sdwa v21, v10, v26 dst_sel:DWORD dst_unused:UNUSED_PAD src0_sel:DWORD src1_sel:WORD_1
	v_fma_f16 v37, v4, v55, v40
	v_fma_f16 v17, v41, v36, -v17
	v_fma_f16 v14, v43, v34, -v14
	v_fma_f16 v10, v10, v26, v38
	v_fma_f16 v7, v7, v29, v25
	v_fma_f16 v35, v49, v22, -v35
	v_fma_f16 v21, v47, v26, -v21
	v_sub_f16_e32 v40, v50, v51
	v_sub_f16_e32 v37, v5, v37
	;; [unrolled: 1-line block ×10, first 2 shown]
	v_mul_f16_e32 v8, v8, v55
	v_sub_f16_e32 v7, v6, v7
	v_sub_f16_e32 v41, v31, v46
	;; [unrolled: 1-line block ×3, first 2 shown]
	v_add_f16_e32 v22, v12, v17
	v_add_f16_e32 v26, v10, v14
	v_fma_f16 v4, v4, v33, -v8
	v_fma_f16 v11, v11, 2.0, -v14
	v_fma_f16 v14, v27, 2.0, -v46
	v_fma_f16 v46, v48, 2.0, -v31
	v_fma_f16 v16, v16, 2.0, -v17
	v_fma_f16 v9, v9, 2.0, -v10
	v_fma_f16 v17, v28, 2.0, -v24
	v_fma_f16 v28, v50, 2.0, -v40
	v_fma_f16 v19, v19, 2.0, -v20
	v_fma_f16 v5, v5, 2.0, -v37
	v_fma_f16 v6, v6, 2.0, -v7
	v_fma_f16 v23, v44, v29, -v23
	s_waitcnt lgkmcnt(0)
	v_sub_f16_e32 v4, v0, v4
	v_fma_f16 v35, v35, 2.0, -v21
	v_fma_f16 v13, v13, 2.0, -v12
	v_sub_f16_e32 v16, v46, v16
	v_sub_f16_e32 v17, v9, v17
	;; [unrolled: 1-line block ×11, first 2 shown]
	v_add_f16_e32 v24, v16, v17
	v_add_f16_e32 v7, v19, v6
	;; [unrolled: 1-line block ×4, first 2 shown]
	v_sub_f16_e32 v27, v11, v14
	v_fma_f16 v20, v24, s1, v7
	v_fma_f16 v0, v0, 2.0, -v4
	v_fma_f16 v23, v32, 2.0, -v23
	;; [unrolled: 1-line block ×4, first 2 shown]
	v_fma_f16 v20, v27, s1, v20
	v_sub_f16_e32 v23, v0, v23
	v_sub_f16_e32 v32, v15, v32
	v_sub_f16_e32 v34, v40, v42
	v_sub_f16_e32 v42, v23, v32
	v_fma_f16 v48, v7, 2.0, -v20
	v_fma_f16 v5, v5, 2.0, -v6
	;; [unrolled: 1-line block ×8, first 2 shown]
	v_fma_f16 v17, v11, s0, v6
	v_fma_f16 v51, v43, s1, v36
	;; [unrolled: 1-line block ×4, first 2 shown]
	v_fma_f16 v37, v37, 2.0, -v36
	v_fma_f16 v18, v18, 2.0, -v43
	;; [unrolled: 1-line block ×4, first 2 shown]
	v_fma_f16 v17, v7, s1, v17
	v_fma_f16 v51, v34, s1, v51
	;; [unrolled: 1-line block ×6, first 2 shown]
	v_fma_f16 v34, v40, 2.0, -v34
	v_fma_f16 v40, v18, s0, v37
	v_fma_f16 v41, v31, s0, v21
	v_fma_f16 v12, v12, 2.0, -v22
	v_fma_f16 v10, v10, 2.0, -v26
	;; [unrolled: 1-line block ×5, first 2 shown]
	v_fma_f16 v30, v22, s0, v30
	v_fma_f16 v40, v34, s1, v40
	;; [unrolled: 1-line block ×10, first 2 shown]
	v_fma_f16 v0, v0, 2.0, -v23
	v_fma_f16 v23, v6, 2.0, -v11
	;; [unrolled: 1-line block ×4, first 2 shown]
	v_fma_f16 v31, v12, s6, v40
	v_fma_f16 v34, v12, s2, v34
	v_fma_f16 v7, v21, 2.0, -v22
	v_fma_f16 v12, v10, s2, v6
	v_fma_f16 v12, v7, s6, v12
	v_fma_f16 v4, v4, 2.0, -v18
	v_fma_f16 v13, v13, 2.0, -v14
	;; [unrolled: 1-line block ×3, first 2 shown]
	v_fma_f16 v6, v7, s2, v4
	v_sub_f16_e32 v15, v5, v15
	v_sub_f16_e32 v13, v9, v13
	v_fma_f16 v10, v10, s3, v6
	v_fma_f16 v29, v43, s0, v29
	v_fma_f16 v43, v18, 2.0, -v34
	v_fma_f16 v16, v46, 2.0, -v16
	v_fma_f16 v19, v28, 2.0, -v19
	v_fma_f16 v18, v4, 2.0, -v10
	v_fma_f16 v4, v5, 2.0, -v15
	v_fma_f16 v5, v9, 2.0, -v13
	v_sub_f16_e32 v16, v32, v16
	v_sub_f16_e32 v19, v0, v19
	;; [unrolled: 1-line block ×3, first 2 shown]
	v_add_f16_e32 v35, v15, v16
	v_sub_f16_e32 v14, v19, v13
	v_fma_f16 v13, v4, 2.0, -v9
	v_fma_f16 v0, v0, 2.0, -v19
	;; [unrolled: 1-line block ×4, first 2 shown]
	v_sub_f16_e32 v15, v0, v4
	v_mad_u64_u32 v[4:5], s[0:1], s8, v1, 0
	v_fma_f16 v16, v0, 2.0, -v15
	v_mov_b32_e32 v0, v5
	v_mad_u64_u32 v[6:7], s[0:1], s9, v1, v[0:1]
	v_mov_b32_e32 v5, v6
	v_lshl_add_u64 v[4:5], v[4:5], 2, v[2:3]
	v_pack_b32_f16 v0, v13, v16
	v_or_b32_e32 v6, 0x100, v1
	global_store_dword v[4:5], v0, off
	v_mad_u64_u32 v[4:5], s[0:1], s8, v6, 0
	v_mov_b32_e32 v0, v5
	v_mad_u64_u32 v[6:7], s[0:1], s9, v6, v[0:1]
	v_mov_b32_e32 v5, v6
	v_lshl_add_u64 v[4:5], v[4:5], 2, v[2:3]
	v_pack_b32_f16 v0, v21, v18
	v_or_b32_e32 v6, 0x200, v1
	global_store_dword v[4:5], v0, off
	v_mad_u64_u32 v[4:5], s[0:1], s8, v6, 0
	v_mov_b32_e32 v0, v5
	v_mad_u64_u32 v[6:7], s[0:1], s9, v6, v[0:1]
	v_mov_b32_e32 v5, v6
	v_fma_f16 v8, v38, s7, v51
	v_fma_f16 v39, v30, s7, v29
	v_lshl_add_u64 v[4:5], v[4:5], 2, v[2:3]
	v_pack_b32_f16 v0, v24, v23
	v_or_b32_e32 v6, 0x300, v1
	v_fma_f16 v8, v30, s6, v8
	v_fma_f16 v39, v38, s3, v39
	v_fma_f16 v36, v36, 2.0, -v51
	v_fma_f16 v30, v45, 2.0, -v30
	;; [unrolled: 1-line block ×4, first 2 shown]
	global_store_dword v[4:5], v0, off
	v_mad_u64_u32 v[4:5], s[0:1], s8, v6, 0
	v_fma_f16 v44, v29, 2.0, -v39
	v_fma_f16 v38, v26, s3, v36
	v_fma_f16 v29, v30, s3, v25
	v_mov_b32_e32 v0, v5
	v_fma_f16 v38, v30, s7, v38
	v_fma_f16 v26, v26, s2, v29
	v_mad_u64_u32 v[6:7], s[0:1], s9, v6, v[0:1]
	v_fma_f16 v36, v36, 2.0, -v38
	v_fma_f16 v25, v25, 2.0, -v26
	v_mov_b32_e32 v5, v6
	v_lshl_add_u64 v[4:5], v[4:5], 2, v[2:3]
	v_pack_b32_f16 v0, v36, v25
	v_or_b32_e32 v6, 0x400, v1
	global_store_dword v[4:5], v0, off
	v_mad_u64_u32 v[4:5], s[0:1], s8, v6, 0
	v_mov_b32_e32 v0, v5
	v_mad_u64_u32 v[6:7], s[0:1], s9, v6, v[0:1]
	v_fma_f16 v28, v19, 2.0, -v14
	v_mov_b32_e32 v5, v6
	v_lshl_add_u64 v[4:5], v[4:5], 2, v[2:3]
	v_pack_b32_f16 v0, v46, v28
	v_or_b32_e32 v6, 0x500, v1
	global_store_dword v[4:5], v0, off
	v_mad_u64_u32 v[4:5], s[0:1], s8, v6, 0
	v_mov_b32_e32 v0, v5
	v_fma_f16 v31, v22, s7, v31
	v_mad_u64_u32 v[6:7], s[0:1], s9, v6, v[0:1]
	v_fma_f16 v41, v40, 2.0, -v31
	v_mov_b32_e32 v5, v6
	v_lshl_add_u64 v[4:5], v[4:5], 2, v[2:3]
	v_pack_b32_f16 v0, v41, v43
	v_or_b32_e32 v6, 0x600, v1
	global_store_dword v[4:5], v0, off
	v_mad_u64_u32 v[4:5], s[0:1], s8, v6, 0
	v_mov_b32_e32 v0, v5
	v_mad_u64_u32 v[6:7], s[0:1], s9, v6, v[0:1]
	v_fma_f16 v49, v42, 2.0, -v47
	v_mov_b32_e32 v5, v6
	v_lshl_add_u64 v[4:5], v[4:5], 2, v[2:3]
	v_pack_b32_f16 v0, v48, v49
	v_or_b32_e32 v6, 0x700, v1
	global_store_dword v[4:5], v0, off
	v_mad_u64_u32 v[4:5], s[0:1], s8, v6, 0
	v_mov_b32_e32 v0, v5
	;; [unrolled: 9-line block ×3, first 2 shown]
	v_mad_u64_u32 v[6:7], s[0:1], s9, v6, v[0:1]
	v_mov_b32_e32 v5, v6
	v_lshl_add_u64 v[4:5], v[4:5], 2, v[2:3]
	v_pack_b32_f16 v0, v9, v15
	v_or_b32_e32 v6, 0x900, v1
	global_store_dword v[4:5], v0, off
	v_mad_u64_u32 v[4:5], s[0:1], s8, v6, 0
	v_mov_b32_e32 v0, v5
	v_mad_u64_u32 v[6:7], s[0:1], s9, v6, v[0:1]
	v_mov_b32_e32 v5, v6
	v_lshl_add_u64 v[4:5], v[4:5], 2, v[2:3]
	v_pack_b32_f16 v0, v12, v10
	v_or_b32_e32 v6, 0xa00, v1
	global_store_dword v[4:5], v0, off
	v_mad_u64_u32 v[4:5], s[0:1], s8, v6, 0
	v_mov_b32_e32 v0, v5
	;; [unrolled: 8-line block ×6, first 2 shown]
	v_mad_u64_u32 v[6:7], s[0:1], s9, v6, v[0:1]
	v_mov_b32_e32 v5, v6
	v_lshl_add_u64 v[4:5], v[4:5], 2, v[2:3]
	v_pack_b32_f16 v0, v20, v47
	global_store_dword v[4:5], v0, off
	v_or_b32_e32 v5, 0xf00, v1
	v_mad_u64_u32 v[0:1], s[0:1], s8, v5, 0
	v_mov_b32_e32 v4, v1
	v_mad_u64_u32 v[4:5], s[0:1], s9, v5, v[4:5]
	v_mov_b32_e32 v1, v4
	v_lshl_add_u64 v[0:1], v[0:1], 2, v[2:3]
	v_pack_b32_f16 v2, v8, v39
	global_store_dword v[0:1], v2, off
.LBB0_13:
	s_endpgm
	.section	.rodata,"a",@progbits
	.p2align	6, 0x0
	.amdhsa_kernel fft_rtc_back_len4096_factors_16_16_16_wgs_256_tpt_256_halfLds_half_ip_CI_sbrr_dirReg
		.amdhsa_group_segment_fixed_size 0
		.amdhsa_private_segment_fixed_size 0
		.amdhsa_kernarg_size 88
		.amdhsa_user_sgpr_count 2
		.amdhsa_user_sgpr_dispatch_ptr 0
		.amdhsa_user_sgpr_queue_ptr 0
		.amdhsa_user_sgpr_kernarg_segment_ptr 1
		.amdhsa_user_sgpr_dispatch_id 0
		.amdhsa_user_sgpr_kernarg_preload_length 0
		.amdhsa_user_sgpr_kernarg_preload_offset 0
		.amdhsa_user_sgpr_private_segment_size 0
		.amdhsa_uses_dynamic_stack 0
		.amdhsa_enable_private_segment 0
		.amdhsa_system_sgpr_workgroup_id_x 1
		.amdhsa_system_sgpr_workgroup_id_y 0
		.amdhsa_system_sgpr_workgroup_id_z 0
		.amdhsa_system_sgpr_workgroup_info 0
		.amdhsa_system_vgpr_workitem_id 0
		.amdhsa_next_free_vgpr 60
		.amdhsa_next_free_sgpr 24
		.amdhsa_accum_offset 60
		.amdhsa_reserve_vcc 1
		.amdhsa_float_round_mode_32 0
		.amdhsa_float_round_mode_16_64 0
		.amdhsa_float_denorm_mode_32 3
		.amdhsa_float_denorm_mode_16_64 3
		.amdhsa_dx10_clamp 1
		.amdhsa_ieee_mode 1
		.amdhsa_fp16_overflow 0
		.amdhsa_tg_split 0
		.amdhsa_exception_fp_ieee_invalid_op 0
		.amdhsa_exception_fp_denorm_src 0
		.amdhsa_exception_fp_ieee_div_zero 0
		.amdhsa_exception_fp_ieee_overflow 0
		.amdhsa_exception_fp_ieee_underflow 0
		.amdhsa_exception_fp_ieee_inexact 0
		.amdhsa_exception_int_div_zero 0
	.end_amdhsa_kernel
	.text
.Lfunc_end0:
	.size	fft_rtc_back_len4096_factors_16_16_16_wgs_256_tpt_256_halfLds_half_ip_CI_sbrr_dirReg, .Lfunc_end0-fft_rtc_back_len4096_factors_16_16_16_wgs_256_tpt_256_halfLds_half_ip_CI_sbrr_dirReg
                                        ; -- End function
	.section	.AMDGPU.csdata,"",@progbits
; Kernel info:
; codeLenInByte = 8176
; NumSgprs: 30
; NumVgprs: 60
; NumAgprs: 0
; TotalNumVgprs: 60
; ScratchSize: 0
; MemoryBound: 0
; FloatMode: 240
; IeeeMode: 1
; LDSByteSize: 0 bytes/workgroup (compile time only)
; SGPRBlocks: 3
; VGPRBlocks: 7
; NumSGPRsForWavesPerEU: 30
; NumVGPRsForWavesPerEU: 60
; AccumOffset: 60
; Occupancy: 8
; WaveLimiterHint : 1
; COMPUTE_PGM_RSRC2:SCRATCH_EN: 0
; COMPUTE_PGM_RSRC2:USER_SGPR: 2
; COMPUTE_PGM_RSRC2:TRAP_HANDLER: 0
; COMPUTE_PGM_RSRC2:TGID_X_EN: 1
; COMPUTE_PGM_RSRC2:TGID_Y_EN: 0
; COMPUTE_PGM_RSRC2:TGID_Z_EN: 0
; COMPUTE_PGM_RSRC2:TIDIG_COMP_CNT: 0
; COMPUTE_PGM_RSRC3_GFX90A:ACCUM_OFFSET: 14
; COMPUTE_PGM_RSRC3_GFX90A:TG_SPLIT: 0
	.text
	.p2alignl 6, 3212836864
	.fill 256, 4, 3212836864
	.type	__hip_cuid_d07d8928051273ab,@object ; @__hip_cuid_d07d8928051273ab
	.section	.bss,"aw",@nobits
	.globl	__hip_cuid_d07d8928051273ab
__hip_cuid_d07d8928051273ab:
	.byte	0                               ; 0x0
	.size	__hip_cuid_d07d8928051273ab, 1

	.ident	"AMD clang version 19.0.0git (https://github.com/RadeonOpenCompute/llvm-project roc-6.4.0 25133 c7fe45cf4b819c5991fe208aaa96edf142730f1d)"
	.section	".note.GNU-stack","",@progbits
	.addrsig
	.addrsig_sym __hip_cuid_d07d8928051273ab
	.amdgpu_metadata
---
amdhsa.kernels:
  - .agpr_count:     0
    .args:
      - .actual_access:  read_only
        .address_space:  global
        .offset:         0
        .size:           8
        .value_kind:     global_buffer
      - .offset:         8
        .size:           8
        .value_kind:     by_value
      - .actual_access:  read_only
        .address_space:  global
        .offset:         16
        .size:           8
        .value_kind:     global_buffer
      - .actual_access:  read_only
        .address_space:  global
        .offset:         24
        .size:           8
        .value_kind:     global_buffer
      - .offset:         32
        .size:           8
        .value_kind:     by_value
      - .actual_access:  read_only
        .address_space:  global
        .offset:         40
        .size:           8
        .value_kind:     global_buffer
      - .actual_access:  read_only
        .address_space:  global
        .offset:         48
        .size:           8
        .value_kind:     global_buffer
      - .offset:         56
        .size:           4
        .value_kind:     by_value
      - .actual_access:  read_only
        .address_space:  global
        .offset:         64
        .size:           8
        .value_kind:     global_buffer
      - .actual_access:  read_only
        .address_space:  global
        .offset:         72
        .size:           8
        .value_kind:     global_buffer
      - .address_space:  global
        .offset:         80
        .size:           8
        .value_kind:     global_buffer
    .group_segment_fixed_size: 0
    .kernarg_segment_align: 8
    .kernarg_segment_size: 88
    .language:       OpenCL C
    .language_version:
      - 2
      - 0
    .max_flat_workgroup_size: 256
    .name:           fft_rtc_back_len4096_factors_16_16_16_wgs_256_tpt_256_halfLds_half_ip_CI_sbrr_dirReg
    .private_segment_fixed_size: 0
    .sgpr_count:     30
    .sgpr_spill_count: 0
    .symbol:         fft_rtc_back_len4096_factors_16_16_16_wgs_256_tpt_256_halfLds_half_ip_CI_sbrr_dirReg.kd
    .uniform_work_group_size: 1
    .uses_dynamic_stack: false
    .vgpr_count:     60
    .vgpr_spill_count: 0
    .wavefront_size: 64
amdhsa.target:   amdgcn-amd-amdhsa--gfx950
amdhsa.version:
  - 1
  - 2
...

	.end_amdgpu_metadata
